;; amdgpu-corpus repo=ROCm/rocFFT kind=compiled arch=gfx906 opt=O3
	.text
	.amdgcn_target "amdgcn-amd-amdhsa--gfx906"
	.amdhsa_code_object_version 6
	.protected	fft_rtc_fwd_len84_factors_7_2_6_wgs_120_tpt_12_halfLds_dp_ip_CI_unitstride_sbrr_R2C_dirReg ; -- Begin function fft_rtc_fwd_len84_factors_7_2_6_wgs_120_tpt_12_halfLds_dp_ip_CI_unitstride_sbrr_R2C_dirReg
	.globl	fft_rtc_fwd_len84_factors_7_2_6_wgs_120_tpt_12_halfLds_dp_ip_CI_unitstride_sbrr_R2C_dirReg
	.p2align	8
	.type	fft_rtc_fwd_len84_factors_7_2_6_wgs_120_tpt_12_halfLds_dp_ip_CI_unitstride_sbrr_R2C_dirReg,@function
fft_rtc_fwd_len84_factors_7_2_6_wgs_120_tpt_12_halfLds_dp_ip_CI_unitstride_sbrr_R2C_dirReg: ; @fft_rtc_fwd_len84_factors_7_2_6_wgs_120_tpt_12_halfLds_dp_ip_CI_unitstride_sbrr_R2C_dirReg
; %bb.0:
	s_load_dwordx2 s[12:13], s[4:5], 0x50
	s_load_dwordx4 s[8:11], s[4:5], 0x0
	s_load_dwordx2 s[2:3], s[4:5], 0x18
	v_mul_u32_u24_e32 v1, 0x1556, v0
	v_lshrrev_b32_e32 v1, 16, v1
	v_mad_u64_u32 v[1:2], s[0:1], s6, 10, v[1:2]
	v_mov_b32_e32 v5, 0
	s_waitcnt lgkmcnt(0)
	v_cmp_lt_u64_e64 s[0:1], s[10:11], 2
	v_mov_b32_e32 v2, v5
	v_mov_b32_e32 v3, 0
	;; [unrolled: 1-line block ×3, first 2 shown]
	s_and_b64 vcc, exec, s[0:1]
	v_mov_b32_e32 v4, 0
	v_mov_b32_e32 v9, v1
	s_cbranch_vccnz .LBB0_8
; %bb.1:
	s_load_dwordx2 s[0:1], s[4:5], 0x10
	s_add_u32 s6, s2, 8
	s_addc_u32 s7, s3, 0
	v_mov_b32_e32 v3, 0
	v_mov_b32_e32 v8, v2
	s_waitcnt lgkmcnt(0)
	s_add_u32 s16, s0, 8
	s_mov_b64 s[14:15], 1
	v_mov_b32_e32 v4, 0
	s_addc_u32 s17, s1, 0
	v_mov_b32_e32 v7, v1
.LBB0_2:                                ; =>This Inner Loop Header: Depth=1
	s_load_dwordx2 s[18:19], s[16:17], 0x0
                                        ; implicit-def: $vgpr9_vgpr10
	s_waitcnt lgkmcnt(0)
	v_or_b32_e32 v6, s19, v8
	v_cmp_ne_u64_e32 vcc, 0, v[5:6]
	s_and_saveexec_b64 s[0:1], vcc
	s_xor_b64 s[20:21], exec, s[0:1]
	s_cbranch_execz .LBB0_4
; %bb.3:                                ;   in Loop: Header=BB0_2 Depth=1
	v_cvt_f32_u32_e32 v2, s18
	v_cvt_f32_u32_e32 v6, s19
	s_sub_u32 s0, 0, s18
	s_subb_u32 s1, 0, s19
	v_mac_f32_e32 v2, 0x4f800000, v6
	v_rcp_f32_e32 v2, v2
	v_mul_f32_e32 v2, 0x5f7ffffc, v2
	v_mul_f32_e32 v6, 0x2f800000, v2
	v_trunc_f32_e32 v6, v6
	v_mac_f32_e32 v2, 0xcf800000, v6
	v_cvt_u32_f32_e32 v6, v6
	v_cvt_u32_f32_e32 v2, v2
	v_mul_lo_u32 v9, s0, v6
	v_mul_hi_u32 v10, s0, v2
	v_mul_lo_u32 v12, s1, v2
	v_mul_lo_u32 v11, s0, v2
	v_add_u32_e32 v9, v10, v9
	v_add_u32_e32 v9, v9, v12
	v_mul_hi_u32 v10, v2, v11
	v_mul_lo_u32 v12, v2, v9
	v_mul_hi_u32 v14, v2, v9
	v_mul_hi_u32 v13, v6, v11
	v_mul_lo_u32 v11, v6, v11
	v_mul_hi_u32 v15, v6, v9
	v_add_co_u32_e32 v10, vcc, v10, v12
	v_addc_co_u32_e32 v12, vcc, 0, v14, vcc
	v_mul_lo_u32 v9, v6, v9
	v_add_co_u32_e32 v10, vcc, v10, v11
	v_addc_co_u32_e32 v10, vcc, v12, v13, vcc
	v_addc_co_u32_e32 v11, vcc, 0, v15, vcc
	v_add_co_u32_e32 v9, vcc, v10, v9
	v_addc_co_u32_e32 v10, vcc, 0, v11, vcc
	v_add_co_u32_e32 v2, vcc, v2, v9
	v_addc_co_u32_e32 v6, vcc, v6, v10, vcc
	v_mul_lo_u32 v9, s0, v6
	v_mul_hi_u32 v10, s0, v2
	v_mul_lo_u32 v11, s1, v2
	v_mul_lo_u32 v12, s0, v2
	v_add_u32_e32 v9, v10, v9
	v_add_u32_e32 v9, v9, v11
	v_mul_lo_u32 v13, v2, v9
	v_mul_hi_u32 v14, v2, v12
	v_mul_hi_u32 v15, v2, v9
	;; [unrolled: 1-line block ×3, first 2 shown]
	v_mul_lo_u32 v12, v6, v12
	v_mul_hi_u32 v10, v6, v9
	v_add_co_u32_e32 v13, vcc, v14, v13
	v_addc_co_u32_e32 v14, vcc, 0, v15, vcc
	v_mul_lo_u32 v9, v6, v9
	v_add_co_u32_e32 v12, vcc, v13, v12
	v_addc_co_u32_e32 v11, vcc, v14, v11, vcc
	v_addc_co_u32_e32 v10, vcc, 0, v10, vcc
	v_add_co_u32_e32 v9, vcc, v11, v9
	v_addc_co_u32_e32 v10, vcc, 0, v10, vcc
	v_add_co_u32_e32 v2, vcc, v2, v9
	v_addc_co_u32_e32 v6, vcc, v6, v10, vcc
	v_mad_u64_u32 v[9:10], s[0:1], v7, v6, 0
	v_mul_hi_u32 v11, v7, v2
	v_add_co_u32_e32 v13, vcc, v11, v9
	v_addc_co_u32_e32 v14, vcc, 0, v10, vcc
	v_mad_u64_u32 v[9:10], s[0:1], v8, v2, 0
	v_mad_u64_u32 v[11:12], s[0:1], v8, v6, 0
	v_add_co_u32_e32 v2, vcc, v13, v9
	v_addc_co_u32_e32 v2, vcc, v14, v10, vcc
	v_addc_co_u32_e32 v6, vcc, 0, v12, vcc
	v_add_co_u32_e32 v2, vcc, v2, v11
	v_addc_co_u32_e32 v6, vcc, 0, v6, vcc
	v_mul_lo_u32 v11, s19, v2
	v_mul_lo_u32 v12, s18, v6
	v_mad_u64_u32 v[9:10], s[0:1], s18, v2, 0
	v_add3_u32 v10, v10, v12, v11
	v_sub_u32_e32 v11, v8, v10
	v_mov_b32_e32 v12, s19
	v_sub_co_u32_e32 v9, vcc, v7, v9
	v_subb_co_u32_e64 v11, s[0:1], v11, v12, vcc
	v_subrev_co_u32_e64 v12, s[0:1], s18, v9
	v_subbrev_co_u32_e64 v11, s[0:1], 0, v11, s[0:1]
	v_cmp_le_u32_e64 s[0:1], s19, v11
	v_cndmask_b32_e64 v13, 0, -1, s[0:1]
	v_cmp_le_u32_e64 s[0:1], s18, v12
	v_cndmask_b32_e64 v12, 0, -1, s[0:1]
	v_cmp_eq_u32_e64 s[0:1], s19, v11
	v_cndmask_b32_e64 v11, v13, v12, s[0:1]
	v_add_co_u32_e64 v12, s[0:1], 2, v2
	v_addc_co_u32_e64 v13, s[0:1], 0, v6, s[0:1]
	v_add_co_u32_e64 v14, s[0:1], 1, v2
	v_addc_co_u32_e64 v15, s[0:1], 0, v6, s[0:1]
	v_subb_co_u32_e32 v10, vcc, v8, v10, vcc
	v_cmp_ne_u32_e64 s[0:1], 0, v11
	v_cmp_le_u32_e32 vcc, s19, v10
	v_cndmask_b32_e64 v11, v15, v13, s[0:1]
	v_cndmask_b32_e64 v13, 0, -1, vcc
	v_cmp_le_u32_e32 vcc, s18, v9
	v_cndmask_b32_e64 v9, 0, -1, vcc
	v_cmp_eq_u32_e32 vcc, s19, v10
	v_cndmask_b32_e32 v9, v13, v9, vcc
	v_cmp_ne_u32_e32 vcc, 0, v9
	v_cndmask_b32_e32 v10, v6, v11, vcc
	v_cndmask_b32_e64 v6, v14, v12, s[0:1]
	v_cndmask_b32_e32 v9, v2, v6, vcc
.LBB0_4:                                ;   in Loop: Header=BB0_2 Depth=1
	s_andn2_saveexec_b64 s[0:1], s[20:21]
	s_cbranch_execz .LBB0_6
; %bb.5:                                ;   in Loop: Header=BB0_2 Depth=1
	v_cvt_f32_u32_e32 v2, s18
	s_sub_i32 s20, 0, s18
	v_rcp_iflag_f32_e32 v2, v2
	v_mul_f32_e32 v2, 0x4f7ffffe, v2
	v_cvt_u32_f32_e32 v2, v2
	v_mul_lo_u32 v6, s20, v2
	v_mul_hi_u32 v6, v2, v6
	v_add_u32_e32 v2, v2, v6
	v_mul_hi_u32 v2, v7, v2
	v_mul_lo_u32 v6, v2, s18
	v_add_u32_e32 v9, 1, v2
	v_sub_u32_e32 v6, v7, v6
	v_subrev_u32_e32 v10, s18, v6
	v_cmp_le_u32_e32 vcc, s18, v6
	v_cndmask_b32_e32 v6, v6, v10, vcc
	v_cndmask_b32_e32 v2, v2, v9, vcc
	v_add_u32_e32 v9, 1, v2
	v_cmp_le_u32_e32 vcc, s18, v6
	v_cndmask_b32_e32 v9, v2, v9, vcc
	v_mov_b32_e32 v10, v5
.LBB0_6:                                ;   in Loop: Header=BB0_2 Depth=1
	s_or_b64 exec, exec, s[0:1]
	v_mul_lo_u32 v2, v10, s18
	v_mul_lo_u32 v6, v9, s19
	v_mad_u64_u32 v[11:12], s[0:1], v9, s18, 0
	s_load_dwordx2 s[0:1], s[6:7], 0x0
	s_add_u32 s14, s14, 1
	v_add3_u32 v2, v12, v6, v2
	v_sub_co_u32_e32 v6, vcc, v7, v11
	v_subb_co_u32_e32 v2, vcc, v8, v2, vcc
	s_waitcnt lgkmcnt(0)
	v_mul_lo_u32 v2, s0, v2
	v_mul_lo_u32 v7, s1, v6
	v_mad_u64_u32 v[3:4], s[0:1], s0, v6, v[3:4]
	s_addc_u32 s15, s15, 0
	s_add_u32 s6, s6, 8
	v_add3_u32 v4, v7, v4, v2
	v_mov_b32_e32 v6, s10
	v_mov_b32_e32 v7, s11
	s_addc_u32 s7, s7, 0
	v_cmp_ge_u64_e32 vcc, s[14:15], v[6:7]
	s_add_u32 s16, s16, 8
	s_addc_u32 s17, s17, 0
	s_cbranch_vccnz .LBB0_8
; %bb.7:                                ;   in Loop: Header=BB0_2 Depth=1
	v_mov_b32_e32 v7, v9
	v_mov_b32_e32 v8, v10
	s_branch .LBB0_2
.LBB0_8:
	s_lshl_b64 s[0:1], s[10:11], 3
	s_add_u32 s0, s2, s0
	s_addc_u32 s1, s3, s1
	s_load_dwordx2 s[0:1], s[0:1], 0x0
	s_mov_b32 s2, 0xcccccccd
	v_mul_hi_u32 v5, v1, s2
	s_mov_b32 s2, 0x15555556
	s_waitcnt lgkmcnt(0)
	v_mul_lo_u32 v6, s0, v10
	v_mul_lo_u32 v7, s1, v9
	v_mad_u64_u32 v[2:3], s[0:1], s0, v9, v[3:4]
	v_lshrrev_b32_e32 v4, 3, v5
	s_load_dwordx2 s[0:1], s[4:5], 0x20
	v_mul_lo_u32 v4, v4, 10
	v_mul_hi_u32 v5, v0, s2
	v_add3_u32 v3, v7, v3, v6
	v_sub_u32_e32 v1, v1, v4
	v_mul_u32_u24_e32 v4, 12, v5
	s_waitcnt lgkmcnt(0)
	v_cmp_gt_u64_e32 vcc, s[0:1], v[9:10]
	v_cmp_le_u64_e64 s[0:1], s[0:1], v[9:10]
	v_sub_u32_e32 v48, v0, v4
	v_add_u32_e32 v53, 12, v48
	v_add_u32_e32 v55, 24, v48
	;; [unrolled: 1-line block ×3, first 2 shown]
	s_and_saveexec_b64 s[2:3], s[0:1]
	s_xor_b64 s[0:1], exec, s[2:3]
; %bb.9:
	v_add_u32_e32 v53, 12, v48
	v_add_u32_e32 v55, 24, v48
	;; [unrolled: 1-line block ×3, first 2 shown]
; %bb.10:
	s_or_saveexec_b64 s[2:3], s[0:1]
	v_mul_u32_u24_e32 v0, 0x55, v1
	v_lshlrev_b64 v[50:51], 4, v[2:3]
	v_lshlrev_b32_e32 v32, 4, v0
	v_lshlrev_b32_e32 v54, 4, v48
	s_xor_b64 exec, exec, s[2:3]
	s_cbranch_execz .LBB0_12
; %bb.11:
	v_mov_b32_e32 v49, 0
	v_mov_b32_e32 v0, s13
	v_add_co_u32_e64 v2, s[0:1], s12, v50
	v_addc_co_u32_e64 v3, s[0:1], v0, v51, s[0:1]
	v_lshlrev_b64 v[0:1], 4, v[48:49]
	v_add_co_u32_e64 v28, s[0:1], v2, v0
	v_addc_co_u32_e64 v29, s[0:1], v3, v1, s[0:1]
	global_load_dwordx4 v[0:3], v[28:29], off
	global_load_dwordx4 v[4:7], v[28:29], off offset:192
	global_load_dwordx4 v[8:11], v[28:29], off offset:384
	;; [unrolled: 1-line block ×6, first 2 shown]
	v_add3_u32 v28, 0, v32, v54
	s_waitcnt vmcnt(6)
	ds_write_b128 v28, v[0:3]
	s_waitcnt vmcnt(5)
	ds_write_b128 v28, v[4:7] offset:192
	s_waitcnt vmcnt(4)
	ds_write_b128 v28, v[8:11] offset:384
	;; [unrolled: 2-line block ×6, first 2 shown]
.LBB0_12:
	s_or_b64 exec, exec, s[2:3]
	v_add_u32_e32 v58, 0, v32
	v_add_u32_e32 v57, v58, v54
	s_waitcnt lgkmcnt(0)
	s_barrier
	v_add3_u32 v49, 0, v54, v32
	ds_read_b128 v[0:3], v57
	ds_read_b128 v[4:7], v49 offset:192
	ds_read_b128 v[8:11], v49 offset:1152
	;; [unrolled: 1-line block ×6, first 2 shown]
	s_waitcnt lgkmcnt(4)
	v_add_f64 v[28:29], v[4:5], v[8:9]
	v_add_f64 v[30:31], v[6:7], v[10:11]
	v_add_f64 v[4:5], v[4:5], -v[8:9]
	v_add_f64 v[6:7], v[6:7], -v[10:11]
	s_waitcnt lgkmcnt(0)
	v_add_f64 v[8:9], v[12:13], v[24:25]
	v_add_f64 v[10:11], v[14:15], v[26:27]
	v_add_f64 v[12:13], v[12:13], -v[24:25]
	v_add_f64 v[14:15], v[14:15], -v[26:27]
	v_add_f64 v[24:25], v[16:17], v[20:21]
	v_add_f64 v[26:27], v[18:19], v[22:23]
	v_add_f64 v[16:17], v[20:21], -v[16:17]
	v_add_f64 v[18:19], v[22:23], -v[18:19]
	;; [unrolled: 4-line block ×3, first 2 shown]
	v_add_f64 v[28:29], v[28:29], -v[24:25]
	v_add_f64 v[30:31], v[30:31], -v[26:27]
	v_add_f64 v[37:38], v[16:17], v[12:13]
	v_add_f64 v[39:40], v[18:19], v[14:15]
	;; [unrolled: 1-line block ×4, first 2 shown]
	v_add_f64 v[8:9], v[24:25], -v[8:9]
	v_add_f64 v[10:11], v[26:27], -v[10:11]
	;; [unrolled: 1-line block ×6, first 2 shown]
	s_mov_b32 s0, 0x37e14327
	s_mov_b32 s1, 0x3fe948f6
	v_add_f64 v[16:17], v[4:5], -v[16:17]
	v_add_f64 v[18:19], v[6:7], -v[18:19]
	v_add_f64 v[24:25], v[37:38], v[4:5]
	v_add_f64 v[26:27], v[39:40], v[6:7]
	;; [unrolled: 1-line block ×4, first 2 shown]
	v_mul_f64 v[0:1], v[28:29], s[0:1]
	v_mul_f64 v[2:3], v[30:31], s[0:1]
	s_mov_b32 s0, 0x36b3c0b5
	s_mov_b32 s1, 0x3fac98ee
	;; [unrolled: 1-line block ×3, first 2 shown]
	v_mul_f64 v[28:29], v[8:9], s[0:1]
	v_mul_f64 v[30:31], v[10:11], s[0:1]
	s_mov_b32 s3, 0xbfe11646
	v_mul_f64 v[37:38], v[41:42], s[2:3]
	v_mul_f64 v[39:40], v[43:44], s[2:3]
	s_mov_b32 s2, 0x429ad128
	s_mov_b32 s3, 0x3febfeb5
	v_mul_f64 v[41:42], v[12:13], s[2:3]
	v_mul_f64 v[43:44], v[14:15], s[2:3]
	v_fma_f64 v[8:9], v[8:9], s[0:1], v[0:1]
	v_fma_f64 v[10:11], v[10:11], s[0:1], v[2:3]
	s_mov_b32 s1, 0x3fe77f67
	s_mov_b32 s0, 0x5476071b
	;; [unrolled: 1-line block ×3, first 2 shown]
	v_fma_f64 v[28:29], v[33:34], s[0:1], -v[28:29]
	v_fma_f64 v[30:31], v[35:36], s[0:1], -v[30:31]
	s_mov_b32 s1, 0xbfe77f67
	s_mov_b32 s5, 0xbff2aaaa
	v_fma_f64 v[0:1], v[33:34], s[0:1], -v[0:1]
	v_fma_f64 v[2:3], v[35:36], s[0:1], -v[2:3]
	s_mov_b32 s1, 0x3fd5d0dc
	s_mov_b32 s0, 0xb247c609
	v_fma_f64 v[20:21], v[20:21], s[4:5], v[4:5]
	v_fma_f64 v[22:23], v[22:23], s[4:5], v[6:7]
	;; [unrolled: 1-line block ×4, first 2 shown]
	s_mov_b32 s1, 0xbfd5d0dc
	v_fma_f64 v[16:17], v[16:17], s[0:1], -v[41:42]
	v_fma_f64 v[18:19], v[18:19], s[0:1], -v[43:44]
	;; [unrolled: 1-line block ×4, first 2 shown]
	s_mov_b32 s0, 0x37c3f68c
	s_mov_b32 s1, 0x3fdc38aa
	v_add_f64 v[37:38], v[8:9], v[20:21]
	v_add_f64 v[39:40], v[10:11], v[22:23]
	v_fma_f64 v[35:36], v[26:27], s[0:1], v[35:36]
	v_fma_f64 v[33:34], v[24:25], s[0:1], v[33:34]
	v_add_f64 v[0:1], v[0:1], v[20:21]
	v_add_f64 v[2:3], v[2:3], v[22:23]
	v_fma_f64 v[41:42], v[26:27], s[0:1], v[18:19]
	v_fma_f64 v[43:44], v[24:25], s[0:1], v[16:17]
	;; [unrolled: 4-line block ×3, first 2 shown]
	v_add_f64 v[8:9], v[37:38], v[35:36]
	v_add_f64 v[10:11], v[39:40], -v[33:34]
	v_add_f64 v[12:13], v[0:1], v[41:42]
	v_add_f64 v[14:15], v[2:3], -v[43:44]
	v_add_f64 v[24:25], v[0:1], -v[41:42]
	v_add_f64 v[26:27], v[43:44], v[2:3]
	v_add_f64 v[16:17], v[28:29], -v[20:21]
	v_add_f64 v[18:19], v[22:23], v[30:31]
	v_add_f64 v[20:21], v[28:29], v[20:21]
	v_add_f64 v[22:23], v[30:31], -v[22:23]
	v_add_f64 v[0:1], v[37:38], -v[35:36]
	v_add_f64 v[2:3], v[33:34], v[39:40]
	s_movk_i32 s0, 0x60
	v_mad_u32_u24 v28, v48, s0, v49
	v_lshl_add_u32 v60, v53, 4, v58
	s_barrier
	ds_write_b128 v28, v[4:7]
	ds_write_b128 v28, v[8:11] offset:16
	ds_write_b128 v28, v[12:15] offset:32
	;; [unrolled: 1-line block ×6, first 2 shown]
	s_waitcnt lgkmcnt(0)
	s_barrier
	ds_read_b128 v[8:11], v57
	ds_read_b128 v[4:7], v49 offset:672
	v_lshl_add_u32 v59, v55, 4, v58
	ds_read_b128 v[16:19], v60
	ds_read_b128 v[12:15], v59
	ds_read_b128 v[24:27], v49 offset:864
	ds_read_b128 v[20:23], v49 offset:1056
	v_cmp_gt_u32_e64 s[0:1], 6, v48
                                        ; implicit-def: $vgpr30_vgpr31
	s_and_saveexec_b64 s[2:3], s[0:1]
	s_cbranch_execz .LBB0_14
; %bb.13:
	v_lshlrev_b32_e32 v0, 4, v52
	v_add3_u32 v0, 0, v0, v32
	ds_read_b128 v[0:3], v0
	ds_read_b128 v[28:31], v49 offset:1248
.LBB0_14:
	s_or_b64 exec, exec, s[2:3]
	v_add_u32_e32 v33, -7, v48
	v_cmp_gt_u32_e64 s[2:3], 7, v48
	v_cndmask_b32_e64 v46, v33, v48, s[2:3]
	v_mov_b32_e32 v47, 0
	v_lshlrev_b64 v[33:34], 4, v[46:47]
	v_mov_b32_e32 v35, s9
	v_add_co_u32_e64 v42, s[2:3], s8, v33
	v_mov_b32_e32 v33, 37
	v_addc_co_u32_e64 v43, s[2:3], v35, v34, s[2:3]
	v_mul_lo_u16_sdwa v34, v53, v33 dst_sel:DWORD dst_unused:UNUSED_PAD src0_sel:BYTE_0 src1_sel:DWORD
	v_sub_u16_sdwa v35, v53, v34 dst_sel:DWORD dst_unused:UNUSED_PAD src0_sel:DWORD src1_sel:BYTE_1
	v_lshrrev_b16_e32 v35, 1, v35
	v_and_b32_e32 v35, 0x7f, v35
	v_add_u16_sdwa v34, v35, v34 dst_sel:DWORD dst_unused:UNUSED_PAD src0_sel:DWORD src1_sel:BYTE_1
	v_lshrrev_b16_e32 v47, 2, v34
	v_mul_lo_u16_e32 v34, 7, v47
	v_sub_u16_e32 v34, v53, v34
	v_mov_b32_e32 v56, 4
	v_lshlrev_b32_sdwa v65, v56, v34 dst_sel:DWORD dst_unused:UNUSED_PAD src0_sel:DWORD src1_sel:BYTE_0
	global_load_dwordx4 v[34:37], v[42:43], off
	global_load_dwordx4 v[38:41], v65, s[8:9]
	v_mul_lo_u16_sdwa v42, v55, v33 dst_sel:DWORD dst_unused:UNUSED_PAD src0_sel:BYTE_0 src1_sel:DWORD
	v_mul_lo_u16_sdwa v33, v52, v33 dst_sel:DWORD dst_unused:UNUSED_PAD src0_sel:BYTE_0 src1_sel:DWORD
	v_sub_u16_sdwa v43, v55, v42 dst_sel:DWORD dst_unused:UNUSED_PAD src0_sel:DWORD src1_sel:BYTE_1
	v_sub_u16_sdwa v44, v52, v33 dst_sel:DWORD dst_unused:UNUSED_PAD src0_sel:DWORD src1_sel:BYTE_1
	v_lshrrev_b16_e32 v43, 1, v43
	v_lshrrev_b16_e32 v44, 1, v44
	v_and_b32_e32 v43, 0x7f, v43
	v_and_b32_e32 v44, 0x7f, v44
	v_add_u16_sdwa v42, v43, v42 dst_sel:DWORD dst_unused:UNUSED_PAD src0_sel:DWORD src1_sel:BYTE_1
	v_add_u16_sdwa v33, v44, v33 dst_sel:DWORD dst_unused:UNUSED_PAD src0_sel:DWORD src1_sel:BYTE_1
	v_lshrrev_b16_e32 v66, 2, v42
	v_lshrrev_b16_e32 v33, 2, v33
	v_mul_lo_u16_e32 v42, 7, v66
	v_mul_lo_u16_e32 v33, 7, v33
	v_sub_u16_e32 v42, v55, v42
	v_sub_u16_e32 v33, v52, v33
	v_lshlrev_b32_sdwa v71, v56, v42 dst_sel:DWORD dst_unused:UNUSED_PAD src0_sel:DWORD src1_sel:BYTE_0
	v_lshlrev_b32_sdwa v33, v56, v33 dst_sel:DWORD dst_unused:UNUSED_PAD src0_sel:DWORD src1_sel:BYTE_0
	global_load_dwordx4 v[42:45], v71, s[8:9]
	global_load_dwordx4 v[61:64], v33, s[8:9]
	v_mov_b32_e32 v56, 0xe0
	v_cmp_lt_u32_e64 s[2:3], 6, v48
	v_cndmask_b32_e64 v56, 0, v56, s[2:3]
	s_movk_i32 s4, 0xe0
	v_lshlrev_b32_e32 v46, 4, v46
	v_add_u32_e32 v56, 0, v56
	v_add3_u32 v56, v56, v46, v32
	v_mad_u32_u24 v46, v47, s4, 0
	v_mad_u32_u24 v72, v66, s4, 0
	v_add3_u32 v73, v46, v65, v32
	s_waitcnt vmcnt(0) lgkmcnt(0)
	s_barrier
	v_mul_f64 v[46:47], v[6:7], v[36:37]
	v_mul_f64 v[36:37], v[4:5], v[36:37]
	;; [unrolled: 1-line block ×4, first 2 shown]
	v_fma_f64 v[4:5], v[4:5], v[34:35], -v[46:47]
	v_fma_f64 v[6:7], v[6:7], v[34:35], v[36:37]
	v_fma_f64 v[24:25], v[24:25], v[38:39], -v[65:66]
	v_fma_f64 v[26:27], v[26:27], v[38:39], v[40:41]
	v_add_f64 v[24:25], v[16:17], -v[24:25]
	v_add_f64 v[26:27], v[18:19], -v[26:27]
	v_mul_f64 v[67:68], v[22:23], v[44:45]
	v_mul_f64 v[69:70], v[30:31], v[63:64]
	;; [unrolled: 1-line block ×4, first 2 shown]
	v_fma_f64 v[16:17], v[16:17], 2.0, -v[24:25]
	v_fma_f64 v[18:19], v[18:19], 2.0, -v[26:27]
	v_fma_f64 v[34:35], v[20:21], v[42:43], -v[67:68]
	v_fma_f64 v[38:39], v[28:29], v[61:62], -v[69:70]
	v_fma_f64 v[40:41], v[30:31], v[61:62], v[63:64]
	v_fma_f64 v[36:37], v[22:23], v[42:43], v[44:45]
	v_add_f64 v[20:21], v[8:9], -v[4:5]
	v_add_f64 v[22:23], v[10:11], -v[6:7]
	;; [unrolled: 1-line block ×6, first 2 shown]
	v_fma_f64 v[8:9], v[8:9], 2.0, -v[20:21]
	v_fma_f64 v[10:11], v[10:11], 2.0, -v[22:23]
	v_add3_u32 v34, v72, v71, v32
	v_fma_f64 v[12:13], v[12:13], 2.0, -v[28:29]
	v_fma_f64 v[0:1], v[0:1], 2.0, -v[4:5]
	;; [unrolled: 1-line block ×4, first 2 shown]
	ds_write_b128 v56, v[20:23] offset:112
	ds_write_b128 v56, v[8:11]
	ds_write_b128 v73, v[24:27] offset:112
	ds_write_b128 v73, v[16:19]
	ds_write_b128 v34, v[12:15]
	ds_write_b128 v34, v[28:31] offset:112
	s_and_saveexec_b64 s[2:3], s[0:1]
	s_cbranch_execz .LBB0_16
; %bb.15:
	v_add3_u32 v8, 0, v33, v32
	ds_write_b128 v8, v[0:3] offset:1120
	ds_write_b128 v8, v[4:7] offset:1232
.LBB0_16:
	s_or_b64 exec, exec, s[2:3]
	s_waitcnt lgkmcnt(0)
	s_barrier
	ds_read_b128 v[24:27], v57
	ds_read_b128 v[44:47], v49 offset:224
	ds_read_b128 v[40:43], v49 offset:448
	;; [unrolled: 1-line block ×5, first 2 shown]
	v_cmp_gt_u32_e64 s[2:3], 2, v48
                                        ; implicit-def: $vgpr22_vgpr23
                                        ; implicit-def: $vgpr18_vgpr19
                                        ; implicit-def: $vgpr14_vgpr15
                                        ; implicit-def: $vgpr10_vgpr11
	s_and_saveexec_b64 s[4:5], s[2:3]
	s_cbranch_execz .LBB0_18
; %bb.17:
	ds_read_b128 v[4:7], v49 offset:416
	ds_read_b128 v[8:11], v49 offset:640
	;; [unrolled: 1-line block ×4, first 2 shown]
	ds_read_b128 v[0:3], v60
	ds_read_b128 v[20:23], v49 offset:1312
.LBB0_18:
	s_or_b64 exec, exec, s[4:5]
	v_mul_u32_u24_e32 v56, 5, v48
	v_lshlrev_b32_e32 v56, 4, v56
	global_load_dwordx4 v[61:64], v56, s[8:9] offset:160
	global_load_dwordx4 v[65:68], v56, s[8:9] offset:144
	global_load_dwordx4 v[69:72], v56, s[8:9] offset:128
	global_load_dwordx4 v[73:76], v56, s[8:9] offset:112
	s_mov_b32 s4, 0xe8584caa
	s_mov_b32 s5, 0x3febb67a
	;; [unrolled: 1-line block ×4, first 2 shown]
	s_waitcnt vmcnt(0) lgkmcnt(4)
	v_mul_f64 v[77:78], v[46:47], v[75:76]
	v_fma_f64 v[77:78], v[44:45], v[73:74], -v[77:78]
	v_mul_f64 v[44:45], v[44:45], v[75:76]
	v_fma_f64 v[44:45], v[46:47], v[73:74], v[44:45]
	s_waitcnt lgkmcnt(3)
	v_mul_f64 v[46:47], v[42:43], v[71:72]
	v_fma_f64 v[46:47], v[40:41], v[69:70], -v[46:47]
	v_mul_f64 v[40:41], v[40:41], v[71:72]
	v_fma_f64 v[40:41], v[42:43], v[69:70], v[40:41]
	s_waitcnt lgkmcnt(2)
	;; [unrolled: 5-line block ×3, first 2 shown]
	v_mul_f64 v[38:39], v[34:35], v[63:64]
	v_fma_f64 v[38:39], v[32:33], v[61:62], -v[38:39]
	v_mul_f64 v[32:33], v[32:33], v[63:64]
	v_fma_f64 v[61:62], v[34:35], v[61:62], v[32:33]
	global_load_dwordx4 v[32:35], v56, s[8:9] offset:176
	s_waitcnt vmcnt(0) lgkmcnt(0)
	s_barrier
	v_mul_f64 v[63:64], v[30:31], v[34:35]
	v_fma_f64 v[63:64], v[28:29], v[32:33], -v[63:64]
	v_mul_f64 v[28:29], v[28:29], v[34:35]
	v_fma_f64 v[28:29], v[30:31], v[32:33], v[28:29]
	v_add_f64 v[30:31], v[24:25], v[46:47]
	v_add_f64 v[65:66], v[30:31], v[38:39]
	;; [unrolled: 1-line block ×3, first 2 shown]
	v_fma_f64 v[24:25], v[30:31], -0.5, v[24:25]
	v_add_f64 v[30:31], v[40:41], -v[61:62]
	v_fma_f64 v[67:68], v[30:31], s[4:5], v[24:25]
	v_fma_f64 v[69:70], v[30:31], s[6:7], v[24:25]
	v_add_f64 v[24:25], v[26:27], v[40:41]
	v_add_f64 v[71:72], v[24:25], v[61:62]
	;; [unrolled: 1-line block ×3, first 2 shown]
	v_fma_f64 v[24:25], v[24:25], -0.5, v[26:27]
	v_add_f64 v[26:27], v[46:47], -v[38:39]
	v_fma_f64 v[46:47], v[26:27], s[6:7], v[24:25]
	v_fma_f64 v[61:62], v[26:27], s[4:5], v[24:25]
	v_add_f64 v[24:25], v[77:78], v[42:43]
	v_add_f64 v[26:27], v[36:37], -v[28:29]
	v_add_f64 v[38:39], v[24:25], v[63:64]
	v_add_f64 v[24:25], v[42:43], v[63:64]
	v_fma_f64 v[24:25], v[24:25], -0.5, v[77:78]
	v_fma_f64 v[30:31], v[26:27], s[4:5], v[24:25]
	v_fma_f64 v[34:35], v[26:27], s[6:7], v[24:25]
	v_add_f64 v[24:25], v[44:45], v[36:37]
	v_add_f64 v[26:27], v[42:43], -v[63:64]
	v_add_f64 v[73:74], v[24:25], v[28:29]
	v_add_f64 v[24:25], v[36:37], v[28:29]
	v_fma_f64 v[24:25], v[24:25], -0.5, v[44:45]
	v_fma_f64 v[36:37], v[26:27], s[6:7], v[24:25]
	v_fma_f64 v[40:41], v[26:27], s[4:5], v[24:25]
	v_add_f64 v[24:25], v[65:66], v[38:39]
	v_mul_f64 v[26:27], v[36:37], s[4:5]
	v_fma_f64 v[42:43], v[30:31], 0.5, v[26:27]
	v_mul_f64 v[30:31], v[30:31], s[6:7]
	v_mul_f64 v[26:27], v[34:35], -0.5
	v_add_f64 v[28:29], v[67:68], v[42:43]
	v_fma_f64 v[63:64], v[36:37], 0.5, v[30:31]
	v_mul_f64 v[36:37], v[40:41], -0.5
	v_fma_f64 v[44:45], v[40:41], s[4:5], v[26:27]
	v_add_f64 v[26:27], v[71:72], v[73:74]
	v_add_f64 v[40:41], v[67:68], -v[42:43]
	v_add_f64 v[30:31], v[46:47], v[63:64]
	v_fma_f64 v[75:76], v[34:35], s[6:7], v[36:37]
	v_add_f64 v[32:33], v[69:70], v[44:45]
	v_add_f64 v[36:37], v[65:66], -v[38:39]
	v_add_f64 v[38:39], v[71:72], -v[73:74]
	v_add_f64 v[42:43], v[46:47], -v[63:64]
	v_add_f64 v[44:45], v[69:70], -v[44:45]
	v_add_f64 v[34:35], v[61:62], v[75:76]
	v_add_f64 v[46:47], v[61:62], -v[75:76]
	ds_write_b128 v49, v[24:27]
	ds_write_b128 v49, v[28:31] offset:224
	ds_write_b128 v49, v[32:35] offset:448
	ds_write_b128 v49, v[36:39] offset:672
	ds_write_b128 v49, v[40:43] offset:896
	ds_write_b128 v49, v[44:47] offset:1120
	s_and_saveexec_b64 s[10:11], s[2:3]
	s_cbranch_execz .LBB0_20
; %bb.19:
	v_add_u32_e32 v24, -2, v48
	v_cndmask_b32_e64 v24, v24, v53, s[2:3]
	v_mul_i32_i24_e32 v24, 5, v24
	v_mov_b32_e32 v25, 0
	v_lshlrev_b64 v[24:25], 4, v[24:25]
	v_mov_b32_e32 v26, s9
	v_add_co_u32_e64 v44, s[2:3], s8, v24
	v_addc_co_u32_e64 v45, s[2:3], v26, v25, s[2:3]
	global_load_dwordx4 v[24:27], v[44:45], off offset:128
	global_load_dwordx4 v[28:31], v[44:45], off offset:160
	global_load_dwordx4 v[32:35], v[44:45], off offset:144
	global_load_dwordx4 v[36:39], v[44:45], off offset:176
	global_load_dwordx4 v[40:43], v[44:45], off offset:112
	s_waitcnt vmcnt(4)
	v_mul_f64 v[44:45], v[10:11], v[26:27]
	s_waitcnt vmcnt(3)
	v_mul_f64 v[46:47], v[18:19], v[30:31]
	;; [unrolled: 2-line block ×3, first 2 shown]
	v_mul_f64 v[34:35], v[12:13], v[34:35]
	s_waitcnt vmcnt(1)
	v_mul_f64 v[63:64], v[20:21], v[38:39]
	v_mul_f64 v[38:39], v[22:23], v[38:39]
	;; [unrolled: 1-line block ×4, first 2 shown]
	s_waitcnt vmcnt(0)
	v_mul_f64 v[65:66], v[6:7], v[42:43]
	v_mul_f64 v[42:43], v[4:5], v[42:43]
	v_fma_f64 v[12:13], v[12:13], v[32:33], -v[61:62]
	v_fma_f64 v[14:15], v[14:15], v[32:33], v[34:35]
	v_fma_f64 v[22:23], v[22:23], v[36:37], v[63:64]
	v_fma_f64 v[20:21], v[20:21], v[36:37], -v[38:39]
	v_fma_f64 v[8:9], v[8:9], v[24:25], -v[44:45]
	v_fma_f64 v[10:11], v[10:11], v[24:25], v[26:27]
	v_fma_f64 v[18:19], v[18:19], v[28:29], v[30:31]
	v_fma_f64 v[4:5], v[4:5], v[40:41], -v[65:66]
	v_fma_f64 v[6:7], v[6:7], v[40:41], v[42:43]
	v_fma_f64 v[16:17], v[16:17], v[28:29], -v[46:47]
	v_add_f64 v[24:25], v[14:15], v[22:23]
	v_add_f64 v[26:27], v[12:13], v[20:21]
	v_add_f64 v[32:33], v[14:15], -v[22:23]
	v_add_f64 v[34:35], v[12:13], -v[20:21]
	v_add_f64 v[30:31], v[10:11], v[18:19]
	v_add_f64 v[36:37], v[2:3], v[10:11]
	;; [unrolled: 1-line block ×3, first 2 shown]
	v_add_f64 v[28:29], v[8:9], -v[16:17]
	v_fma_f64 v[6:7], v[24:25], -0.5, v[6:7]
	v_fma_f64 v[24:25], v[26:27], -0.5, v[4:5]
	v_add_f64 v[26:27], v[8:9], v[16:17]
	v_add_f64 v[10:11], v[10:11], -v[18:19]
	v_add_f64 v[4:5], v[4:5], v[12:13]
	v_fma_f64 v[2:3], v[30:31], -0.5, v[2:3]
	v_add_f64 v[12:13], v[36:37], v[18:19]
	v_add_f64 v[8:9], v[0:1], v[8:9]
	v_fma_f64 v[18:19], v[34:35], s[4:5], v[6:7]
	v_fma_f64 v[30:31], v[32:33], s[4:5], v[24:25]
	;; [unrolled: 1-line block ×3, first 2 shown]
	v_add_f64 v[14:15], v[14:15], v[22:23]
	v_fma_f64 v[22:23], v[32:33], s[6:7], v[24:25]
	v_fma_f64 v[0:1], v[26:27], -0.5, v[0:1]
	v_add_f64 v[4:5], v[4:5], v[20:21]
	v_fma_f64 v[24:25], v[28:29], s[4:5], v[2:3]
	v_fma_f64 v[26:27], v[28:29], s[6:7], v[2:3]
	v_mul_f64 v[20:21], v[30:31], s[6:7]
	v_mul_f64 v[28:29], v[6:7], s[4:5]
	v_add_f64 v[8:9], v[8:9], v[16:17]
	v_mul_f64 v[16:17], v[18:19], -0.5
	v_mul_f64 v[32:33], v[22:23], -0.5
	v_fma_f64 v[36:37], v[10:11], s[4:5], v[0:1]
	v_fma_f64 v[34:35], v[10:11], s[6:7], v[0:1]
	v_add_f64 v[2:3], v[12:13], -v[14:15]
	v_fma_f64 v[20:21], v[6:7], 0.5, v[20:21]
	v_fma_f64 v[28:29], v[30:31], 0.5, v[28:29]
	v_add_f64 v[0:1], v[8:9], -v[4:5]
	v_fma_f64 v[16:17], v[22:23], s[6:7], v[16:17]
	v_fma_f64 v[30:31], v[18:19], s[4:5], v[32:33]
	v_add_f64 v[6:7], v[12:13], v[14:15]
	v_add_f64 v[4:5], v[8:9], v[4:5]
	v_add_f64 v[14:15], v[26:27], -v[20:21]
	v_add_f64 v[22:23], v[26:27], v[20:21]
	v_add_f64 v[20:21], v[36:37], v[28:29]
	v_add_f64 v[10:11], v[24:25], -v[16:17]
	;; [unrolled: 3-line block ×3, first 2 shown]
	v_add_f64 v[8:9], v[34:35], -v[30:31]
	ds_write_b128 v49, v[4:7] offset:192
	ds_write_b128 v49, v[0:3] offset:864
	;; [unrolled: 1-line block ×6, first 2 shown]
.LBB0_20:
	s_or_b64 exec, exec, s[10:11]
	s_waitcnt lgkmcnt(0)
	s_barrier
	ds_read_b128 v[4:7], v57
	v_sub_u32_e32 v10, v58, v54
	v_cmp_ne_u32_e64 s[2:3], 0, v48
                                        ; implicit-def: $vgpr2_vgpr3
                                        ; implicit-def: $vgpr8_vgpr9
	s_and_saveexec_b64 s[4:5], s[2:3]
	s_xor_b64 s[4:5], exec, s[4:5]
	s_cbranch_execz .LBB0_22
; %bb.21:
	v_mov_b32_e32 v49, 0
	v_lshlrev_b64 v[0:1], 4, v[48:49]
	v_mov_b32_e32 v2, s9
	v_add_co_u32_e64 v0, s[2:3], s8, v0
	v_addc_co_u32_e64 v1, s[2:3], v2, v1, s[2:3]
	global_load_dwordx4 v[11:14], v[0:1], off offset:1232
	ds_read_b128 v[0:3], v10 offset:1344
	s_waitcnt lgkmcnt(0)
	v_add_f64 v[8:9], v[4:5], -v[0:1]
	v_add_f64 v[15:16], v[6:7], v[2:3]
	v_add_f64 v[2:3], v[6:7], -v[2:3]
	v_add_f64 v[0:1], v[4:5], v[0:1]
	v_mul_f64 v[6:7], v[8:9], 0.5
	v_mul_f64 v[4:5], v[15:16], 0.5
	;; [unrolled: 1-line block ×3, first 2 shown]
	s_waitcnt vmcnt(0)
	v_mul_f64 v[8:9], v[6:7], v[13:14]
	v_fma_f64 v[15:16], v[4:5], v[13:14], v[2:3]
	v_fma_f64 v[2:3], v[4:5], v[13:14], -v[2:3]
	v_fma_f64 v[17:18], v[0:1], 0.5, v[8:9]
	v_fma_f64 v[0:1], v[0:1], 0.5, -v[8:9]
	v_fma_f64 v[8:9], -v[11:12], v[6:7], v[15:16]
	v_fma_f64 v[2:3], -v[11:12], v[6:7], v[2:3]
	v_fma_f64 v[13:14], v[4:5], v[11:12], v[17:18]
	v_fma_f64 v[0:1], -v[4:5], v[11:12], v[0:1]
                                        ; implicit-def: $vgpr4_vgpr5
	ds_write_b64 v57, v[13:14]
.LBB0_22:
	s_andn2_saveexec_b64 s[2:3], s[4:5]
	s_cbranch_execz .LBB0_24
; %bb.23:
	s_waitcnt lgkmcnt(0)
	v_add_f64 v[2:3], v[4:5], v[6:7]
	ds_read_b64 v[11:12], v58 offset:680
	v_add_f64 v[0:1], v[4:5], -v[6:7]
	v_mov_b32_e32 v8, 0
	v_mov_b32_e32 v9, 0
	s_waitcnt lgkmcnt(0)
	v_xor_b32_e32 v12, 0x80000000, v12
	ds_write_b64 v58, v[11:12] offset:680
	ds_write_b64 v57, v[2:3]
	v_mov_b32_e32 v2, v8
	v_mov_b32_e32 v3, v9
.LBB0_24:
	s_or_b64 exec, exec, s[2:3]
	v_mov_b32_e32 v54, 0
	s_waitcnt lgkmcnt(0)
	v_lshlrev_b64 v[4:5], 4, v[53:54]
	v_mov_b32_e32 v13, s9
	v_add_co_u32_e64 v4, s[2:3], s8, v4
	v_addc_co_u32_e64 v5, s[2:3], v13, v5, s[2:3]
	global_load_dwordx4 v[4:7], v[4:5], off offset:1232
	v_mov_b32_e32 v56, v54
	v_lshlrev_b64 v[11:12], 4, v[55:56]
	v_add_co_u32_e64 v11, s[2:3], s8, v11
	v_addc_co_u32_e64 v12, s[2:3], v13, v12, s[2:3]
	global_load_dwordx4 v[11:14], v[11:12], off offset:1232
	ds_write_b64 v57, v[8:9] offset:8
	ds_write_b128 v10, v[0:3] offset:1344
	ds_read_b128 v[0:3], v60
	ds_read_b128 v[15:18], v10 offset:1152
	s_waitcnt lgkmcnt(0)
	v_add_f64 v[8:9], v[0:1], -v[15:16]
	v_add_f64 v[19:20], v[2:3], v[17:18]
	v_add_f64 v[2:3], v[2:3], -v[17:18]
	v_add_f64 v[0:1], v[0:1], v[15:16]
	v_mul_f64 v[8:9], v[8:9], 0.5
	v_mul_f64 v[17:18], v[19:20], 0.5
	;; [unrolled: 1-line block ×3, first 2 shown]
	s_waitcnt vmcnt(1)
	v_mul_f64 v[15:16], v[8:9], v[6:7]
	v_fma_f64 v[19:20], v[17:18], v[6:7], v[2:3]
	v_fma_f64 v[6:7], v[17:18], v[6:7], -v[2:3]
	v_fma_f64 v[21:22], v[0:1], 0.5, v[15:16]
	v_fma_f64 v[15:16], v[0:1], 0.5, -v[15:16]
	v_fma_f64 v[2:3], -v[4:5], v[8:9], v[19:20]
	v_fma_f64 v[6:7], -v[4:5], v[8:9], v[6:7]
	v_fma_f64 v[0:1], v[17:18], v[4:5], v[21:22]
	v_fma_f64 v[4:5], -v[17:18], v[4:5], v[15:16]
	ds_write_b128 v60, v[0:3]
	ds_write_b128 v10, v[4:7] offset:1152
	ds_read_b128 v[0:3], v59
	ds_read_b128 v[4:7], v10 offset:960
	s_waitcnt lgkmcnt(0)
	v_add_f64 v[8:9], v[0:1], -v[4:5]
	v_add_f64 v[15:16], v[2:3], v[6:7]
	v_add_f64 v[2:3], v[2:3], -v[6:7]
	v_add_f64 v[0:1], v[0:1], v[4:5]
	v_mul_f64 v[6:7], v[8:9], 0.5
	v_mul_f64 v[8:9], v[15:16], 0.5
	;; [unrolled: 1-line block ×3, first 2 shown]
	s_waitcnt vmcnt(0)
	v_mul_f64 v[4:5], v[6:7], v[13:14]
	v_fma_f64 v[15:16], v[8:9], v[13:14], v[2:3]
	v_fma_f64 v[13:14], v[8:9], v[13:14], -v[2:3]
	v_fma_f64 v[17:18], v[0:1], 0.5, v[4:5]
	v_fma_f64 v[4:5], v[0:1], 0.5, -v[4:5]
	v_fma_f64 v[2:3], -v[11:12], v[6:7], v[15:16]
	v_fma_f64 v[6:7], -v[11:12], v[6:7], v[13:14]
	v_fma_f64 v[0:1], v[8:9], v[11:12], v[17:18]
	v_fma_f64 v[4:5], -v[8:9], v[11:12], v[4:5]
	ds_write_b128 v59, v[0:3]
	ds_write_b128 v10, v[4:7] offset:960
	s_and_saveexec_b64 s[2:3], s[0:1]
	s_cbranch_execz .LBB0_26
; %bb.25:
	v_mov_b32_e32 v53, v54
	v_lshlrev_b64 v[0:1], 4, v[52:53]
	v_mov_b32_e32 v2, s9
	v_add_co_u32_e64 v0, s[0:1], s8, v0
	v_addc_co_u32_e64 v1, s[0:1], v2, v1, s[0:1]
	global_load_dwordx4 v[0:3], v[0:1], off offset:1232
	v_lshl_add_u32 v17, v52, 4, v58
	ds_read_b128 v[4:7], v17
	ds_read_b128 v[11:14], v10 offset:768
	s_waitcnt lgkmcnt(0)
	v_add_f64 v[8:9], v[4:5], -v[11:12]
	v_add_f64 v[15:16], v[6:7], v[13:14]
	v_add_f64 v[6:7], v[6:7], -v[13:14]
	v_add_f64 v[4:5], v[4:5], v[11:12]
	v_mul_f64 v[8:9], v[8:9], 0.5
	v_mul_f64 v[13:14], v[15:16], 0.5
	;; [unrolled: 1-line block ×3, first 2 shown]
	s_waitcnt vmcnt(0)
	v_mul_f64 v[11:12], v[8:9], v[2:3]
	v_fma_f64 v[15:16], v[13:14], v[2:3], v[6:7]
	v_fma_f64 v[2:3], v[13:14], v[2:3], -v[6:7]
	v_fma_f64 v[6:7], v[4:5], 0.5, v[11:12]
	v_fma_f64 v[11:12], v[4:5], 0.5, -v[11:12]
	v_fma_f64 v[4:5], -v[0:1], v[8:9], v[15:16]
	v_fma_f64 v[8:9], -v[0:1], v[8:9], v[2:3]
	v_fma_f64 v[2:3], v[13:14], v[0:1], v[6:7]
	v_fma_f64 v[6:7], -v[13:14], v[0:1], v[11:12]
	ds_write_b128 v17, v[2:5]
	ds_write_b128 v10, v[6:9] offset:768
.LBB0_26:
	s_or_b64 exec, exec, s[2:3]
	s_waitcnt lgkmcnt(0)
	s_barrier
	s_and_saveexec_b64 s[0:1], vcc
	s_cbranch_execz .LBB0_29
; %bb.27:
	v_mov_b32_e32 v49, 0
	ds_read_b128 v[2:5], v57
	ds_read_b128 v[6:9], v57 offset:192
	v_mov_b32_e32 v1, s13
	v_add_co_u32_e32 v0, vcc, s12, v50
	v_lshlrev_b64 v[10:11], 4, v[48:49]
	v_addc_co_u32_e32 v1, vcc, v1, v51, vcc
	v_add_co_u32_e32 v22, vcc, v0, v10
	v_addc_co_u32_e32 v23, vcc, v1, v11, vcc
	s_waitcnt lgkmcnt(1)
	global_store_dwordx4 v[22:23], v[2:5], off
	s_waitcnt lgkmcnt(0)
	global_store_dwordx4 v[22:23], v[6:9], off offset:192
	ds_read_b128 v[2:5], v57 offset:384
	ds_read_b128 v[6:9], v57 offset:576
	;; [unrolled: 1-line block ×5, first 2 shown]
	v_cmp_eq_u32_e32 vcc, 11, v48
	s_waitcnt lgkmcnt(4)
	global_store_dwordx4 v[22:23], v[2:5], off offset:384
	s_waitcnt lgkmcnt(3)
	global_store_dwordx4 v[22:23], v[6:9], off offset:576
	;; [unrolled: 2-line block ×5, first 2 shown]
	s_and_b64 exec, exec, vcc
	s_cbranch_execz .LBB0_29
; %bb.28:
	ds_read_b128 v[2:5], v57 offset:1168
	s_waitcnt lgkmcnt(0)
	global_store_dwordx4 v[0:1], v[2:5], off offset:1344
.LBB0_29:
	s_endpgm
	.section	.rodata,"a",@progbits
	.p2align	6, 0x0
	.amdhsa_kernel fft_rtc_fwd_len84_factors_7_2_6_wgs_120_tpt_12_halfLds_dp_ip_CI_unitstride_sbrr_R2C_dirReg
		.amdhsa_group_segment_fixed_size 0
		.amdhsa_private_segment_fixed_size 0
		.amdhsa_kernarg_size 88
		.amdhsa_user_sgpr_count 6
		.amdhsa_user_sgpr_private_segment_buffer 1
		.amdhsa_user_sgpr_dispatch_ptr 0
		.amdhsa_user_sgpr_queue_ptr 0
		.amdhsa_user_sgpr_kernarg_segment_ptr 1
		.amdhsa_user_sgpr_dispatch_id 0
		.amdhsa_user_sgpr_flat_scratch_init 0
		.amdhsa_user_sgpr_private_segment_size 0
		.amdhsa_uses_dynamic_stack 0
		.amdhsa_system_sgpr_private_segment_wavefront_offset 0
		.amdhsa_system_sgpr_workgroup_id_x 1
		.amdhsa_system_sgpr_workgroup_id_y 0
		.amdhsa_system_sgpr_workgroup_id_z 0
		.amdhsa_system_sgpr_workgroup_info 0
		.amdhsa_system_vgpr_workitem_id 0
		.amdhsa_next_free_vgpr 79
		.amdhsa_next_free_sgpr 22
		.amdhsa_reserve_vcc 1
		.amdhsa_reserve_flat_scratch 0
		.amdhsa_float_round_mode_32 0
		.amdhsa_float_round_mode_16_64 0
		.amdhsa_float_denorm_mode_32 3
		.amdhsa_float_denorm_mode_16_64 3
		.amdhsa_dx10_clamp 1
		.amdhsa_ieee_mode 1
		.amdhsa_fp16_overflow 0
		.amdhsa_exception_fp_ieee_invalid_op 0
		.amdhsa_exception_fp_denorm_src 0
		.amdhsa_exception_fp_ieee_div_zero 0
		.amdhsa_exception_fp_ieee_overflow 0
		.amdhsa_exception_fp_ieee_underflow 0
		.amdhsa_exception_fp_ieee_inexact 0
		.amdhsa_exception_int_div_zero 0
	.end_amdhsa_kernel
	.text
.Lfunc_end0:
	.size	fft_rtc_fwd_len84_factors_7_2_6_wgs_120_tpt_12_halfLds_dp_ip_CI_unitstride_sbrr_R2C_dirReg, .Lfunc_end0-fft_rtc_fwd_len84_factors_7_2_6_wgs_120_tpt_12_halfLds_dp_ip_CI_unitstride_sbrr_R2C_dirReg
                                        ; -- End function
	.section	.AMDGPU.csdata,"",@progbits
; Kernel info:
; codeLenInByte = 5904
; NumSgprs: 26
; NumVgprs: 79
; ScratchSize: 0
; MemoryBound: 0
; FloatMode: 240
; IeeeMode: 1
; LDSByteSize: 0 bytes/workgroup (compile time only)
; SGPRBlocks: 3
; VGPRBlocks: 19
; NumSGPRsForWavesPerEU: 26
; NumVGPRsForWavesPerEU: 79
; Occupancy: 3
; WaveLimiterHint : 1
; COMPUTE_PGM_RSRC2:SCRATCH_EN: 0
; COMPUTE_PGM_RSRC2:USER_SGPR: 6
; COMPUTE_PGM_RSRC2:TRAP_HANDLER: 0
; COMPUTE_PGM_RSRC2:TGID_X_EN: 1
; COMPUTE_PGM_RSRC2:TGID_Y_EN: 0
; COMPUTE_PGM_RSRC2:TGID_Z_EN: 0
; COMPUTE_PGM_RSRC2:TIDIG_COMP_CNT: 0
	.type	__hip_cuid_41ccde302c52e76c,@object ; @__hip_cuid_41ccde302c52e76c
	.section	.bss,"aw",@nobits
	.globl	__hip_cuid_41ccde302c52e76c
__hip_cuid_41ccde302c52e76c:
	.byte	0                               ; 0x0
	.size	__hip_cuid_41ccde302c52e76c, 1

	.ident	"AMD clang version 19.0.0git (https://github.com/RadeonOpenCompute/llvm-project roc-6.4.0 25133 c7fe45cf4b819c5991fe208aaa96edf142730f1d)"
	.section	".note.GNU-stack","",@progbits
	.addrsig
	.addrsig_sym __hip_cuid_41ccde302c52e76c
	.amdgpu_metadata
---
amdhsa.kernels:
  - .args:
      - .actual_access:  read_only
        .address_space:  global
        .offset:         0
        .size:           8
        .value_kind:     global_buffer
      - .offset:         8
        .size:           8
        .value_kind:     by_value
      - .actual_access:  read_only
        .address_space:  global
        .offset:         16
        .size:           8
        .value_kind:     global_buffer
      - .actual_access:  read_only
        .address_space:  global
        .offset:         24
        .size:           8
        .value_kind:     global_buffer
      - .offset:         32
        .size:           8
        .value_kind:     by_value
      - .actual_access:  read_only
        .address_space:  global
        .offset:         40
        .size:           8
        .value_kind:     global_buffer
      - .actual_access:  read_only
        .address_space:  global
        .offset:         48
        .size:           8
        .value_kind:     global_buffer
      - .offset:         56
        .size:           4
        .value_kind:     by_value
      - .actual_access:  read_only
        .address_space:  global
        .offset:         64
        .size:           8
        .value_kind:     global_buffer
      - .actual_access:  read_only
        .address_space:  global
        .offset:         72
        .size:           8
        .value_kind:     global_buffer
      - .address_space:  global
        .offset:         80
        .size:           8
        .value_kind:     global_buffer
    .group_segment_fixed_size: 0
    .kernarg_segment_align: 8
    .kernarg_segment_size: 88
    .language:       OpenCL C
    .language_version:
      - 2
      - 0
    .max_flat_workgroup_size: 120
    .name:           fft_rtc_fwd_len84_factors_7_2_6_wgs_120_tpt_12_halfLds_dp_ip_CI_unitstride_sbrr_R2C_dirReg
    .private_segment_fixed_size: 0
    .sgpr_count:     26
    .sgpr_spill_count: 0
    .symbol:         fft_rtc_fwd_len84_factors_7_2_6_wgs_120_tpt_12_halfLds_dp_ip_CI_unitstride_sbrr_R2C_dirReg.kd
    .uniform_work_group_size: 1
    .uses_dynamic_stack: false
    .vgpr_count:     79
    .vgpr_spill_count: 0
    .wavefront_size: 64
amdhsa.target:   amdgcn-amd-amdhsa--gfx906
amdhsa.version:
  - 1
  - 2
...

	.end_amdgpu_metadata
